;; amdgpu-corpus repo=ROCm/rocFFT kind=compiled arch=gfx1201 opt=O3
	.text
	.amdgcn_target "amdgcn-amd-amdhsa--gfx1201"
	.amdhsa_code_object_version 6
	.protected	fft_rtc_fwd_len1323_factors_3_3_3_7_7_wgs_189_tpt_189_sp_ip_CI_sbrr_dirReg ; -- Begin function fft_rtc_fwd_len1323_factors_3_3_3_7_7_wgs_189_tpt_189_sp_ip_CI_sbrr_dirReg
	.globl	fft_rtc_fwd_len1323_factors_3_3_3_7_7_wgs_189_tpt_189_sp_ip_CI_sbrr_dirReg
	.p2align	8
	.type	fft_rtc_fwd_len1323_factors_3_3_3_7_7_wgs_189_tpt_189_sp_ip_CI_sbrr_dirReg,@function
fft_rtc_fwd_len1323_factors_3_3_3_7_7_wgs_189_tpt_189_sp_ip_CI_sbrr_dirReg: ; @fft_rtc_fwd_len1323_factors_3_3_3_7_7_wgs_189_tpt_189_sp_ip_CI_sbrr_dirReg
; %bb.0:
	s_clause 0x2
	s_load_b64 s[12:13], s[0:1], 0x18
	s_load_b128 s[4:7], s[0:1], 0x0
	s_load_b64 s[8:9], s[0:1], 0x50
	v_mul_u32_u24_e32 v1, 0x15b, v0
	v_mov_b32_e32 v3, 0
	s_delay_alu instid0(VALU_DEP_2) | instskip(NEXT) | instid1(VALU_DEP_1)
	v_lshrrev_b32_e32 v1, 16, v1
	v_add_nc_u32_e32 v5, ttmp9, v1
	v_mov_b32_e32 v1, 0
	v_mov_b32_e32 v2, 0
	;; [unrolled: 1-line block ×3, first 2 shown]
	s_wait_kmcnt 0x0
	s_load_b64 s[10:11], s[12:13], 0x0
	v_cmp_lt_u64_e64 s2, s[6:7], 2
	s_delay_alu instid0(VALU_DEP_1)
	s_and_b32 vcc_lo, exec_lo, s2
	s_cbranch_vccnz .LBB0_8
; %bb.1:
	s_load_b64 s[2:3], s[0:1], 0x10
	v_mov_b32_e32 v1, 0
	v_mov_b32_e32 v2, 0
	s_add_nc_u64 s[14:15], s[12:13], 8
	s_mov_b64 s[16:17], 1
	s_wait_kmcnt 0x0
	s_add_nc_u64 s[18:19], s[2:3], 8
	s_mov_b32 s3, 0
.LBB0_2:                                ; =>This Inner Loop Header: Depth=1
	s_load_b64 s[20:21], s[18:19], 0x0
                                        ; implicit-def: $vgpr7_vgpr8
	s_mov_b32 s2, exec_lo
	s_wait_kmcnt 0x0
	v_or_b32_e32 v4, s21, v6
	s_delay_alu instid0(VALU_DEP_1)
	v_cmpx_ne_u64_e32 0, v[3:4]
	s_wait_alu 0xfffe
	s_xor_b32 s22, exec_lo, s2
	s_cbranch_execz .LBB0_4
; %bb.3:                                ;   in Loop: Header=BB0_2 Depth=1
	s_cvt_f32_u32 s2, s20
	s_cvt_f32_u32 s23, s21
	s_sub_nc_u64 s[26:27], 0, s[20:21]
	s_wait_alu 0xfffe
	s_delay_alu instid0(SALU_CYCLE_1) | instskip(SKIP_1) | instid1(SALU_CYCLE_2)
	s_fmamk_f32 s2, s23, 0x4f800000, s2
	s_wait_alu 0xfffe
	v_s_rcp_f32 s2, s2
	s_delay_alu instid0(TRANS32_DEP_1) | instskip(SKIP_1) | instid1(SALU_CYCLE_2)
	s_mul_f32 s2, s2, 0x5f7ffffc
	s_wait_alu 0xfffe
	s_mul_f32 s23, s2, 0x2f800000
	s_wait_alu 0xfffe
	s_delay_alu instid0(SALU_CYCLE_2) | instskip(SKIP_1) | instid1(SALU_CYCLE_2)
	s_trunc_f32 s23, s23
	s_wait_alu 0xfffe
	s_fmamk_f32 s2, s23, 0xcf800000, s2
	s_cvt_u32_f32 s25, s23
	s_wait_alu 0xfffe
	s_delay_alu instid0(SALU_CYCLE_1) | instskip(SKIP_1) | instid1(SALU_CYCLE_2)
	s_cvt_u32_f32 s24, s2
	s_wait_alu 0xfffe
	s_mul_u64 s[28:29], s[26:27], s[24:25]
	s_wait_alu 0xfffe
	s_mul_hi_u32 s31, s24, s29
	s_mul_i32 s30, s24, s29
	s_mul_hi_u32 s2, s24, s28
	s_mul_i32 s33, s25, s28
	s_wait_alu 0xfffe
	s_add_nc_u64 s[30:31], s[2:3], s[30:31]
	s_mul_hi_u32 s23, s25, s28
	s_mul_hi_u32 s34, s25, s29
	s_add_co_u32 s2, s30, s33
	s_wait_alu 0xfffe
	s_add_co_ci_u32 s2, s31, s23
	s_mul_i32 s28, s25, s29
	s_add_co_ci_u32 s29, s34, 0
	s_wait_alu 0xfffe
	s_add_nc_u64 s[28:29], s[2:3], s[28:29]
	s_wait_alu 0xfffe
	v_add_co_u32 v4, s2, s24, s28
	s_delay_alu instid0(VALU_DEP_1) | instskip(SKIP_1) | instid1(VALU_DEP_1)
	s_cmp_lg_u32 s2, 0
	s_add_co_ci_u32 s25, s25, s29
	v_readfirstlane_b32 s24, v4
	s_wait_alu 0xfffe
	s_delay_alu instid0(VALU_DEP_1)
	s_mul_u64 s[26:27], s[26:27], s[24:25]
	s_wait_alu 0xfffe
	s_mul_hi_u32 s29, s24, s27
	s_mul_i32 s28, s24, s27
	s_mul_hi_u32 s2, s24, s26
	s_mul_i32 s30, s25, s26
	s_wait_alu 0xfffe
	s_add_nc_u64 s[28:29], s[2:3], s[28:29]
	s_mul_hi_u32 s23, s25, s26
	s_mul_hi_u32 s24, s25, s27
	s_wait_alu 0xfffe
	s_add_co_u32 s2, s28, s30
	s_add_co_ci_u32 s2, s29, s23
	s_mul_i32 s26, s25, s27
	s_add_co_ci_u32 s27, s24, 0
	s_wait_alu 0xfffe
	s_add_nc_u64 s[26:27], s[2:3], s[26:27]
	s_wait_alu 0xfffe
	v_add_co_u32 v4, s2, v4, s26
	s_delay_alu instid0(VALU_DEP_1) | instskip(SKIP_1) | instid1(VALU_DEP_1)
	s_cmp_lg_u32 s2, 0
	s_add_co_ci_u32 s2, s25, s27
	v_mul_hi_u32 v13, v5, v4
	s_wait_alu 0xfffe
	v_mad_co_u64_u32 v[7:8], null, v5, s2, 0
	v_mad_co_u64_u32 v[9:10], null, v6, v4, 0
	;; [unrolled: 1-line block ×3, first 2 shown]
	s_delay_alu instid0(VALU_DEP_3) | instskip(SKIP_1) | instid1(VALU_DEP_4)
	v_add_co_u32 v4, vcc_lo, v13, v7
	s_wait_alu 0xfffd
	v_add_co_ci_u32_e32 v7, vcc_lo, 0, v8, vcc_lo
	s_delay_alu instid0(VALU_DEP_2) | instskip(SKIP_1) | instid1(VALU_DEP_2)
	v_add_co_u32 v4, vcc_lo, v4, v9
	s_wait_alu 0xfffd
	v_add_co_ci_u32_e32 v4, vcc_lo, v7, v10, vcc_lo
	s_wait_alu 0xfffd
	v_add_co_ci_u32_e32 v7, vcc_lo, 0, v12, vcc_lo
	s_delay_alu instid0(VALU_DEP_2) | instskip(SKIP_1) | instid1(VALU_DEP_2)
	v_add_co_u32 v4, vcc_lo, v4, v11
	s_wait_alu 0xfffd
	v_add_co_ci_u32_e32 v9, vcc_lo, 0, v7, vcc_lo
	s_delay_alu instid0(VALU_DEP_2) | instskip(SKIP_1) | instid1(VALU_DEP_3)
	v_mul_lo_u32 v10, s21, v4
	v_mad_co_u64_u32 v[7:8], null, s20, v4, 0
	v_mul_lo_u32 v11, s20, v9
	s_delay_alu instid0(VALU_DEP_2) | instskip(NEXT) | instid1(VALU_DEP_2)
	v_sub_co_u32 v7, vcc_lo, v5, v7
	v_add3_u32 v8, v8, v11, v10
	s_delay_alu instid0(VALU_DEP_1) | instskip(SKIP_1) | instid1(VALU_DEP_1)
	v_sub_nc_u32_e32 v10, v6, v8
	s_wait_alu 0xfffd
	v_subrev_co_ci_u32_e64 v10, s2, s21, v10, vcc_lo
	v_add_co_u32 v11, s2, v4, 2
	s_wait_alu 0xf1ff
	v_add_co_ci_u32_e64 v12, s2, 0, v9, s2
	v_sub_co_u32 v13, s2, v7, s20
	v_sub_co_ci_u32_e32 v8, vcc_lo, v6, v8, vcc_lo
	s_wait_alu 0xf1ff
	v_subrev_co_ci_u32_e64 v10, s2, 0, v10, s2
	s_delay_alu instid0(VALU_DEP_3) | instskip(NEXT) | instid1(VALU_DEP_3)
	v_cmp_le_u32_e32 vcc_lo, s20, v13
	v_cmp_eq_u32_e64 s2, s21, v8
	s_wait_alu 0xfffd
	v_cndmask_b32_e64 v13, 0, -1, vcc_lo
	v_cmp_le_u32_e32 vcc_lo, s21, v10
	s_wait_alu 0xfffd
	v_cndmask_b32_e64 v14, 0, -1, vcc_lo
	v_cmp_le_u32_e32 vcc_lo, s20, v7
	;; [unrolled: 3-line block ×3, first 2 shown]
	s_wait_alu 0xfffd
	v_cndmask_b32_e64 v15, 0, -1, vcc_lo
	v_cmp_eq_u32_e32 vcc_lo, s21, v10
	s_wait_alu 0xf1ff
	s_delay_alu instid0(VALU_DEP_2)
	v_cndmask_b32_e64 v7, v15, v7, s2
	s_wait_alu 0xfffd
	v_cndmask_b32_e32 v10, v14, v13, vcc_lo
	v_add_co_u32 v13, vcc_lo, v4, 1
	s_wait_alu 0xfffd
	v_add_co_ci_u32_e32 v14, vcc_lo, 0, v9, vcc_lo
	s_delay_alu instid0(VALU_DEP_3) | instskip(SKIP_2) | instid1(VALU_DEP_3)
	v_cmp_ne_u32_e32 vcc_lo, 0, v10
	s_wait_alu 0xfffd
	v_cndmask_b32_e32 v10, v13, v11, vcc_lo
	v_cndmask_b32_e32 v8, v14, v12, vcc_lo
	v_cmp_ne_u32_e32 vcc_lo, 0, v7
	s_wait_alu 0xfffd
	s_delay_alu instid0(VALU_DEP_2)
	v_dual_cndmask_b32 v7, v4, v10 :: v_dual_cndmask_b32 v8, v9, v8
.LBB0_4:                                ;   in Loop: Header=BB0_2 Depth=1
	s_wait_alu 0xfffe
	s_and_not1_saveexec_b32 s2, s22
	s_cbranch_execz .LBB0_6
; %bb.5:                                ;   in Loop: Header=BB0_2 Depth=1
	v_cvt_f32_u32_e32 v4, s20
	s_sub_co_i32 s22, 0, s20
	s_delay_alu instid0(VALU_DEP_1) | instskip(NEXT) | instid1(TRANS32_DEP_1)
	v_rcp_iflag_f32_e32 v4, v4
	v_mul_f32_e32 v4, 0x4f7ffffe, v4
	s_delay_alu instid0(VALU_DEP_1) | instskip(SKIP_1) | instid1(VALU_DEP_1)
	v_cvt_u32_f32_e32 v4, v4
	s_wait_alu 0xfffe
	v_mul_lo_u32 v7, s22, v4
	s_delay_alu instid0(VALU_DEP_1) | instskip(NEXT) | instid1(VALU_DEP_1)
	v_mul_hi_u32 v7, v4, v7
	v_add_nc_u32_e32 v4, v4, v7
	s_delay_alu instid0(VALU_DEP_1) | instskip(NEXT) | instid1(VALU_DEP_1)
	v_mul_hi_u32 v4, v5, v4
	v_mul_lo_u32 v7, v4, s20
	v_add_nc_u32_e32 v8, 1, v4
	s_delay_alu instid0(VALU_DEP_2) | instskip(NEXT) | instid1(VALU_DEP_1)
	v_sub_nc_u32_e32 v7, v5, v7
	v_subrev_nc_u32_e32 v9, s20, v7
	v_cmp_le_u32_e32 vcc_lo, s20, v7
	s_wait_alu 0xfffd
	s_delay_alu instid0(VALU_DEP_2) | instskip(NEXT) | instid1(VALU_DEP_1)
	v_dual_cndmask_b32 v7, v7, v9 :: v_dual_cndmask_b32 v4, v4, v8
	v_cmp_le_u32_e32 vcc_lo, s20, v7
	s_delay_alu instid0(VALU_DEP_2) | instskip(SKIP_1) | instid1(VALU_DEP_1)
	v_add_nc_u32_e32 v8, 1, v4
	s_wait_alu 0xfffd
	v_dual_cndmask_b32 v7, v4, v8 :: v_dual_mov_b32 v8, v3
.LBB0_6:                                ;   in Loop: Header=BB0_2 Depth=1
	s_wait_alu 0xfffe
	s_or_b32 exec_lo, exec_lo, s2
	s_load_b64 s[22:23], s[14:15], 0x0
	s_delay_alu instid0(VALU_DEP_1)
	v_mul_lo_u32 v4, v8, s20
	v_mul_lo_u32 v11, v7, s21
	v_mad_co_u64_u32 v[9:10], null, v7, s20, 0
	s_add_nc_u64 s[16:17], s[16:17], 1
	s_add_nc_u64 s[14:15], s[14:15], 8
	s_wait_alu 0xfffe
	v_cmp_ge_u64_e64 s2, s[16:17], s[6:7]
	s_add_nc_u64 s[18:19], s[18:19], 8
	s_delay_alu instid0(VALU_DEP_2) | instskip(NEXT) | instid1(VALU_DEP_3)
	v_add3_u32 v4, v10, v11, v4
	v_sub_co_u32 v5, vcc_lo, v5, v9
	s_wait_alu 0xfffd
	s_delay_alu instid0(VALU_DEP_2) | instskip(SKIP_3) | instid1(VALU_DEP_2)
	v_sub_co_ci_u32_e32 v4, vcc_lo, v6, v4, vcc_lo
	s_and_b32 vcc_lo, exec_lo, s2
	s_wait_kmcnt 0x0
	v_mul_lo_u32 v6, s23, v5
	v_mul_lo_u32 v4, s22, v4
	v_mad_co_u64_u32 v[1:2], null, s22, v5, v[1:2]
	s_delay_alu instid0(VALU_DEP_1)
	v_add3_u32 v2, v6, v2, v4
	s_wait_alu 0xfffe
	s_cbranch_vccnz .LBB0_9
; %bb.7:                                ;   in Loop: Header=BB0_2 Depth=1
	v_dual_mov_b32 v5, v7 :: v_dual_mov_b32 v6, v8
	s_branch .LBB0_2
.LBB0_8:
	v_dual_mov_b32 v8, v6 :: v_dual_mov_b32 v7, v5
.LBB0_9:
	s_lshl_b64 s[2:3], s[6:7], 3
	v_mul_hi_u32 v3, 0x15ac057, v0
	s_wait_alu 0xfffe
	s_add_nc_u64 s[2:3], s[12:13], s[2:3]
	s_load_b64 s[2:3], s[2:3], 0x0
	s_load_b64 s[0:1], s[0:1], 0x20
	s_delay_alu instid0(VALU_DEP_1) | instskip(NEXT) | instid1(VALU_DEP_1)
	v_mul_u32_u24_e32 v3, 0xbd, v3
	v_sub_nc_u32_e32 v20, v0, v3
	s_delay_alu instid0(VALU_DEP_1)
	v_add_nc_u32_e32 v23, 0xbd, v20
	s_wait_kmcnt 0x0
	v_mul_lo_u32 v4, s2, v8
	v_mul_lo_u32 v5, s3, v7
	v_mad_co_u64_u32 v[1:2], null, s2, v7, v[1:2]
	v_cmp_gt_u64_e32 vcc_lo, s[0:1], v[7:8]
	v_cmp_le_u64_e64 s0, s[0:1], v[7:8]
                                        ; implicit-def: $sgpr2
	s_delay_alu instid0(VALU_DEP_3) | instskip(NEXT) | instid1(VALU_DEP_2)
	v_add3_u32 v2, v5, v2, v4
	s_and_saveexec_b32 s1, s0
	s_wait_alu 0xfffe
	s_xor_b32 s0, exec_lo, s1
; %bb.10:
	v_add_nc_u32_e32 v23, 0xbd, v20
	s_mov_b32 s2, 0
; %bb.11:
	s_wait_alu 0xfffe
	s_or_saveexec_b32 s1, s0
	v_lshlrev_b64_e32 v[8:9], 3, v[1:2]
	v_mov_b32_e32 v21, s2
                                        ; implicit-def: $vgpr1
                                        ; implicit-def: $vgpr15
                                        ; implicit-def: $vgpr11
                                        ; implicit-def: $vgpr5
                                        ; implicit-def: $vgpr19
                                        ; implicit-def: $vgpr17
                                        ; implicit-def: $vgpr13
                                        ; implicit-def: $vgpr7
                                        ; implicit-def: $vgpr3
	s_wait_alu 0xfffe
	s_xor_b32 exec_lo, exec_lo, s1
	s_cbranch_execz .LBB0_15
; %bb.12:
	v_add_nc_u32_e32 v12, 0x1b9, v20
	v_mad_co_u64_u32 v[0:1], null, s10, v20, 0
	v_add_nc_u32_e32 v14, 0x372, v20
	v_mad_co_u64_u32 v[10:11], null, s10, v23, 0
	s_delay_alu instid0(VALU_DEP_4) | instskip(NEXT) | instid1(VALU_DEP_3)
	v_mad_co_u64_u32 v[2:3], null, s10, v12, 0
	v_mad_co_u64_u32 v[4:5], null, s10, v14, 0
	s_mov_b32 s2, exec_lo
	v_add_nc_u32_e32 v16, 0x276, v20
	s_delay_alu instid0(VALU_DEP_3) | instskip(NEXT) | instid1(VALU_DEP_4)
	v_mad_co_u64_u32 v[6:7], null, s11, v20, v[1:2]
	v_mov_b32_e32 v1, v3
	s_delay_alu instid0(VALU_DEP_4) | instskip(NEXT) | instid1(VALU_DEP_2)
	v_mov_b32_e32 v3, v5
	v_mad_co_u64_u32 v[12:13], null, s11, v12, v[1:2]
	s_delay_alu instid0(VALU_DEP_4) | instskip(NEXT) | instid1(VALU_DEP_3)
	v_mov_b32_e32 v1, v6
	v_mad_co_u64_u32 v[5:6], null, s11, v14, v[3:4]
	v_mad_co_u64_u32 v[14:15], null, s10, v16, 0
	s_delay_alu instid0(VALU_DEP_4) | instskip(SKIP_3) | instid1(VALU_DEP_4)
	v_dual_mov_b32 v6, v11 :: v_dual_mov_b32 v3, v12
	v_add_nc_u32_e32 v12, 0x42f, v20
	v_lshlrev_b64_e32 v[0:1], 3, v[0:1]
	v_add_co_u32 v13, s0, s8, v8
	v_mad_co_u64_u32 v[6:7], null, s11, v23, v[6:7]
	v_mov_b32_e32 v7, v15
	v_mad_co_u64_u32 v[18:19], null, s10, v12, 0
	s_wait_alu 0xf1ff
	v_add_co_ci_u32_e64 v17, s0, s9, v9, s0
	v_lshlrev_b64_e32 v[2:3], 3, v[2:3]
	v_mov_b32_e32 v11, v6
	v_mad_co_u64_u32 v[6:7], null, s11, v16, v[7:8]
	v_mov_b32_e32 v7, v19
	v_add_co_u32 v0, s0, v13, v0
	v_lshlrev_b64_e32 v[4:5], 3, v[4:5]
	s_wait_alu 0xf1ff
	v_add_co_ci_u32_e64 v1, s0, v17, v1, s0
	v_mad_co_u64_u32 v[21:22], null, s11, v12, v[7:8]
	v_add_co_u32 v2, s0, v13, v2
	v_lshlrev_b64_e32 v[10:11], 3, v[10:11]
	v_mov_b32_e32 v15, v6
	s_wait_alu 0xf1ff
	v_add_co_ci_u32_e64 v3, s0, v17, v3, s0
	v_add_co_u32 v4, s0, v13, v4
	v_mov_b32_e32 v19, v21
	s_wait_alu 0xf1ff
	v_add_co_ci_u32_e64 v5, s0, v17, v5, s0
	v_lshlrev_b64_e32 v[6:7], 3, v[14:15]
	v_add_co_u32 v21, s0, v13, v10
	s_wait_alu 0xf1ff
	v_add_co_ci_u32_e64 v22, s0, v17, v11, s0
	v_lshlrev_b64_e32 v[10:11], 3, v[18:19]
	s_delay_alu instid0(VALU_DEP_4) | instskip(SKIP_2) | instid1(VALU_DEP_3)
	v_add_co_u32 v6, s0, v13, v6
	s_wait_alu 0xf1ff
	v_add_co_ci_u32_e64 v7, s0, v17, v7, s0
                                        ; implicit-def: $vgpr12
                                        ; implicit-def: $vgpr16
	v_add_co_u32 v18, s0, v13, v10
	s_wait_alu 0xf1ff
	v_add_co_ci_u32_e64 v19, s0, v17, v11, s0
	s_clause 0x5
	global_load_b64 v[0:1], v[0:1], off
	global_load_b64 v[14:15], v[2:3], off
	;; [unrolled: 1-line block ×6, first 2 shown]
                                        ; implicit-def: $vgpr18
	v_cmpx_gt_u32_e32 63, v20
	s_cbranch_execz .LBB0_14
; %bb.13:
	v_add_nc_u32_e32 v28, 0x4ec, v20
	s_delay_alu instid0(VALU_DEP_1) | instskip(SKIP_1) | instid1(VALU_DEP_1)
	v_mad_co_u64_u32 v[24:25], null, s10, v28, 0
	v_add_nc_u32_e32 v26, 0x17a, v20
	v_mad_co_u64_u32 v[18:19], null, s10, v26, 0
	s_delay_alu instid0(VALU_DEP_1) | instskip(NEXT) | instid1(VALU_DEP_1)
	v_dual_mov_b32 v12, v19 :: v_dual_add_nc_u32 v27, 0x333, v20
	v_mad_co_u64_u32 v[21:22], null, s10, v27, 0
	v_mov_b32_e32 v19, v25
	s_delay_alu instid0(VALU_DEP_3) | instskip(NEXT) | instid1(VALU_DEP_3)
	v_mad_co_u64_u32 v[25:26], null, s11, v26, v[12:13]
	v_mov_b32_e32 v16, v22
	s_delay_alu instid0(VALU_DEP_1) | instskip(NEXT) | instid1(VALU_DEP_4)
	v_mad_co_u64_u32 v[26:27], null, s11, v27, v[16:17]
	v_mad_co_u64_u32 v[27:28], null, s11, v28, v[19:20]
	s_delay_alu instid0(VALU_DEP_2) | instskip(NEXT) | instid1(VALU_DEP_1)
	v_dual_mov_b32 v19, v25 :: v_dual_mov_b32 v22, v26
	v_lshlrev_b64_e32 v[18:19], 3, v[18:19]
	s_delay_alu instid0(VALU_DEP_3) | instskip(NEXT) | instid1(VALU_DEP_3)
	v_mov_b32_e32 v25, v27
	v_lshlrev_b64_e32 v[21:22], 3, v[21:22]
	s_delay_alu instid0(VALU_DEP_2) | instskip(NEXT) | instid1(VALU_DEP_4)
	v_lshlrev_b64_e32 v[24:25], 3, v[24:25]
	v_add_co_u32 v18, s0, v13, v18
	s_wait_alu 0xf1ff
	v_add_co_ci_u32_e64 v19, s0, v17, v19, s0
	s_delay_alu instid0(VALU_DEP_4)
	v_add_co_u32 v21, s0, v13, v21
	s_wait_alu 0xf1ff
	v_add_co_ci_u32_e64 v22, s0, v17, v22, s0
	v_add_co_u32 v24, s0, v13, v24
	s_wait_alu 0xf1ff
	v_add_co_ci_u32_e64 v25, s0, v17, v25, s0
	s_clause 0x2
	global_load_b64 v[12:13], v[18:19], off
	global_load_b64 v[16:17], v[21:22], off
	;; [unrolled: 1-line block ×3, first 2 shown]
.LBB0_14:
	s_wait_alu 0xfffe
	s_or_b32 exec_lo, exec_lo, s2
	v_mov_b32_e32 v21, v20
.LBB0_15:
	s_or_b32 exec_lo, exec_lo, s1
	s_wait_loadcnt 0x3
	v_dual_add_f32 v22, v14, v10 :: v_dual_add_f32 v27, v15, v11
	v_add_f32_e32 v24, v0, v14
	v_sub_f32_e32 v26, v15, v11
	s_delay_alu instid0(VALU_DEP_3) | instskip(NEXT) | instid1(VALU_DEP_4)
	v_dual_add_f32 v15, v1, v15 :: v_dual_fmac_f32 v0, -0.5, v22
	v_dual_fmac_f32 v1, -0.5, v27 :: v_dual_sub_f32 v14, v14, v10
	s_wait_loadcnt 0x0
	v_dual_add_f32 v25, v24, v10 :: v_dual_add_f32 v10, v6, v4
	s_delay_alu instid0(VALU_DEP_3) | instskip(SKIP_4) | instid1(VALU_DEP_3)
	v_fmamk_f32 v27, v26, 0x3f5db3d7, v0
	v_fmac_f32_e32 v0, 0xbf5db3d7, v26
	v_dual_add_f32 v26, v15, v11 :: v_dual_add_f32 v11, v2, v4
	v_fmamk_f32 v28, v14, 0xbf5db3d7, v1
	v_dual_fmac_f32 v1, 0x3f5db3d7, v14 :: v_dual_add_f32 v14, v7, v5
	v_dual_fmac_f32 v2, -0.5, v10 :: v_dual_add_f32 v29, v6, v11
	v_dual_sub_f32 v10, v5, v7 :: v_dual_add_f32 v5, v3, v5
	s_delay_alu instid0(VALU_DEP_3) | instskip(SKIP_2) | instid1(VALU_DEP_4)
	v_fmac_f32_e32 v3, -0.5, v14
	v_dual_sub_f32 v6, v4, v6 :: v_dual_add_f32 v11, v17, v13
	v_mad_u32_u24 v22, v20, 24, 0
	v_dual_add_f32 v30, v7, v5 :: v_dual_add_f32 v7, v18, v16
	v_fmamk_f32 v4, v10, 0x3f5db3d7, v2
	s_delay_alu instid0(VALU_DEP_4) | instskip(SKIP_4) | instid1(VALU_DEP_4)
	v_dual_fmac_f32 v2, 0xbf5db3d7, v10 :: v_dual_fmamk_f32 v5, v6, 0xbf5db3d7, v3
	v_dual_fmac_f32 v3, 0x3f5db3d7, v6 :: v_dual_add_f32 v6, v19, v17
	v_dual_add_f32 v10, v16, v12 :: v_dual_add_f32 v11, v19, v11
	v_mad_i32_i24 v24, v23, 24, 0
	v_cmp_gt_u32_e64 s0, 63, v20
	v_fmac_f32_e32 v13, -0.5, v6
	v_sub_f32_e32 v6, v16, v18
	v_fmac_f32_e32 v12, -0.5, v7
	v_dual_sub_f32 v7, v17, v19 :: v_dual_add_f32 v10, v18, v10
	ds_store_2addr_b64 v22, v[25:26], v[27:28] offset1:1
	ds_store_b64 v22, v[0:1] offset:16
	ds_store_2addr_b64 v24, v[29:30], v[4:5] offset1:1
	ds_store_b64 v24, v[2:3] offset:16
	v_fmamk_f32 v15, v6, 0xbf5db3d7, v13
	v_dual_fmac_f32 v13, 0x3f5db3d7, v6 :: v_dual_fmamk_f32 v14, v7, 0x3f5db3d7, v12
	v_fmac_f32_e32 v12, 0xbf5db3d7, v7
	s_and_saveexec_b32 s1, s0
	s_cbranch_execz .LBB0_17
; %bb.16:
	v_add_nc_u32_e32 v0, 0x2370, v22
	ds_store_2addr_b64 v0, v[10:11], v[14:15] offset1:1
	ds_store_b64 v22, v[12:13] offset:9088
.LBB0_17:
	s_wait_alu 0xfffe
	s_or_b32 exec_lo, exec_lo, s1
	v_lshlrev_b32_e32 v26, 4, v20
	v_lshlrev_b32_e32 v25, 4, v23
	global_wb scope:SCOPE_SE
	s_wait_dscnt 0x0
	s_barrier_signal -1
	s_barrier_wait -1
	v_sub_nc_u32_e32 v0, v22, v26
	v_sub_nc_u32_e32 v1, v24, v25
	global_inv scope:SCOPE_SE
	v_sub_nc_u32_e32 v26, 0, v26
	ds_load_b64 v[18:19], v0
	ds_load_b64 v[16:17], v1
	v_add_nc_u32_e32 v2, 0xc00, v0
	v_add_nc_u32_e32 v3, 0x1a00, v0
	;; [unrolled: 1-line block ×3, first 2 shown]
	s_wait_dscnt 0x1
	ds_load_b32 v19, v0 offset:4
	ds_load_2addr_b64 v[4:7], v2 offset0:57 offset1:246
	ds_load_2addr_b64 v[0:3], v3 offset0:50 offset1:239
	s_and_saveexec_b32 s1, s0
	s_cbranch_execz .LBB0_19
; %bb.18:
	ds_load_b64 v[10:11], v22 offset:3024
	ds_load_b64 v[14:15], v22 offset:6552
	;; [unrolled: 1-line block ×3, first 2 shown]
.LBB0_19:
	s_wait_alu 0xfffe
	s_or_b32 exec_lo, exec_lo, s1
	v_and_b32_e32 v26, 0xff, v20
	v_and_b32_e32 v29, 0xffff, v23
	v_add_nc_u32_e32 v27, 0x17a, v20
	v_sub_nc_u32_e32 v25, 0, v25
	s_delay_alu instid0(VALU_DEP_4) | instskip(NEXT) | instid1(VALU_DEP_4)
	v_mul_lo_u16 v28, 0xab, v26
	v_mul_u32_u24_e32 v30, 0xaaab, v29
	s_delay_alu instid0(VALU_DEP_2) | instskip(SKIP_1) | instid1(VALU_DEP_3)
	v_lshrrev_b16 v44, 9, v28
	v_and_b32_e32 v28, 0xffff, v27
	v_lshrrev_b32_e32 v45, 17, v30
	s_delay_alu instid0(VALU_DEP_3) | instskip(NEXT) | instid1(VALU_DEP_3)
	v_mul_lo_u16 v30, v44, 3
	v_mul_u32_u24_e32 v31, 0xaaab, v28
	s_delay_alu instid0(VALU_DEP_3) | instskip(SKIP_1) | instid1(VALU_DEP_4)
	v_mul_lo_u16 v32, v45, 3
	v_mul_u32_u24_e32 v45, 0x48, v45
	v_sub_nc_u16 v33, v20, v30
	s_delay_alu instid0(VALU_DEP_4) | instskip(NEXT) | instid1(VALU_DEP_4)
	v_lshrrev_b32_e32 v30, 17, v31
	v_sub_nc_u16 v31, v23, v32
	s_delay_alu instid0(VALU_DEP_3) | instskip(NEXT) | instid1(VALU_DEP_3)
	v_and_b32_e32 v46, 0xff, v33
	v_mul_lo_u16 v32, v30, 3
	s_delay_alu instid0(VALU_DEP_3) | instskip(NEXT) | instid1(VALU_DEP_3)
	v_and_b32_e32 v47, 0xffff, v31
	v_lshlrev_b32_e32 v31, 4, v46
	s_delay_alu instid0(VALU_DEP_3) | instskip(NEXT) | instid1(VALU_DEP_3)
	v_sub_nc_u16 v40, v27, v32
	v_lshlrev_b32_e32 v36, 4, v47
	s_clause 0x1
	global_load_b128 v[32:35], v31, s[4:5]
	global_load_b128 v[36:39], v36, s[4:5]
	v_and_b32_e32 v31, 0xffff, v40
	v_and_b32_e32 v44, 0xffff, v44
	s_delay_alu instid0(VALU_DEP_2)
	v_lshlrev_b32_e32 v40, 4, v31
	s_wait_loadcnt_dscnt 0x0
	v_mul_f32_e32 v49, v39, v3
	v_mul_f32_e32 v39, v39, v2
	global_load_b128 v[40:43], v40, s[4:5]
	v_lshlrev_b32_e32 v47, 3, v47
	v_mul_u32_u24_e32 v44, 0x48, v44
	v_mul_f32_e32 v48, v37, v7
	v_mul_f32_e32 v37, v37, v6
	v_fma_f32 v2, v38, v2, -v49
	v_add3_u32 v45, 0, v45, v47
	v_mul_f32_e32 v47, v35, v1
	v_dual_mul_f32 v35, v35, v0 :: v_dual_lshlrev_b32 v46, 3, v46
	global_wb scope:SCOPE_SE
	s_wait_loadcnt 0x0
	s_barrier_signal -1
	v_fma_f32 v0, v34, v0, -v47
	v_fmac_f32_e32 v35, v34, v1
	v_add3_u32 v44, 0, v44, v46
	v_mul_f32_e32 v46, v33, v5
	v_mul_f32_e32 v33, v33, v4
	v_fma_f32 v1, v36, v6, -v48
	s_barrier_wait -1
	global_inv scope:SCOPE_SE
	v_fma_f32 v4, v32, v4, -v46
	v_dual_fmac_f32 v33, v32, v5 :: v_dual_add_f32 v34, v1, v2
	v_fmac_f32_e32 v37, v36, v7
	v_fmac_f32_e32 v39, v38, v3
	v_mul_f32_e32 v7, v13, v43
	v_mul_f32_e32 v5, v15, v41
	;; [unrolled: 1-line block ×4, first 2 shown]
	s_delay_alu instid0(VALU_DEP_4)
	v_fma_f32 v12, v12, v42, -v7
	v_add_f32_e32 v7, v4, v0
	v_fma_f32 v5, v14, v40, -v5
	v_fmac_f32_e32 v6, v15, v40
	v_sub_f32_e32 v40, v1, v2
	v_fmac_f32_e32 v32, v13, v42
	v_dual_add_f32 v3, v4, v18 :: v_dual_fmac_f32 v18, -0.5, v7
	v_dual_sub_f32 v13, v33, v35 :: v_dual_add_f32 v14, v19, v33
	v_add_f32_e32 v15, v33, v35
	v_sub_f32_e32 v33, v4, v0
	v_add_f32_e32 v4, v16, v1
	v_add_f32_e32 v38, v17, v37
	v_sub_f32_e32 v36, v37, v39
	v_dual_add_f32 v37, v37, v39 :: v_dual_add_f32 v0, v3, v0
	s_delay_alu instid0(VALU_DEP_4) | instskip(SKIP_2) | instid1(VALU_DEP_4)
	v_dual_add_f32 v2, v4, v2 :: v_dual_fmac_f32 v19, -0.5, v15
	v_fmamk_f32 v4, v13, 0x3f5db3d7, v18
	v_fma_f32 v16, -0.5, v34, v16
	v_dual_sub_f32 v34, v6, v32 :: v_dual_fmac_f32 v17, -0.5, v37
	v_add_f32_e32 v15, v5, v12
	v_add_f32_e32 v37, v6, v32
	;; [unrolled: 1-line block ×3, first 2 shown]
	v_dual_add_f32 v3, v38, v39 :: v_dual_fmac_f32 v18, 0xbf5db3d7, v13
	v_dual_add_f32 v14, v10, v5 :: v_dual_add_f32 v35, v11, v6
	v_sub_f32_e32 v38, v5, v12
	v_dual_fmac_f32 v10, -0.5, v15 :: v_dual_fmac_f32 v11, -0.5, v37
	s_delay_alu instid0(VALU_DEP_3) | instskip(SKIP_2) | instid1(VALU_DEP_4)
	v_dual_fmamk_f32 v5, v33, 0xbf5db3d7, v19 :: v_dual_add_f32 v12, v14, v12
	v_fmamk_f32 v6, v36, 0x3f5db3d7, v16
	v_dual_fmac_f32 v16, 0xbf5db3d7, v36 :: v_dual_fmamk_f32 v7, v40, 0xbf5db3d7, v17
	v_dual_add_f32 v13, v35, v32 :: v_dual_fmamk_f32 v14, v34, 0x3f5db3d7, v10
	v_dual_fmac_f32 v10, 0xbf5db3d7, v34 :: v_dual_fmamk_f32 v15, v38, 0xbf5db3d7, v11
	v_fmac_f32_e32 v11, 0x3f5db3d7, v38
	v_fmac_f32_e32 v19, 0x3f5db3d7, v33
	;; [unrolled: 1-line block ×3, first 2 shown]
	ds_store_2addr_b64 v44, v[0:1], v[4:5] offset1:3
	ds_store_b64 v44, v[18:19] offset:48
	ds_store_2addr_b64 v45, v[2:3], v[6:7] offset1:3
	ds_store_b64 v45, v[16:17] offset:48
	s_and_saveexec_b32 s1, s0
	s_cbranch_execz .LBB0_21
; %bb.20:
	v_mul_lo_u16 v0, v30, 9
	v_lshlrev_b32_e32 v1, 3, v31
	s_delay_alu instid0(VALU_DEP_2) | instskip(NEXT) | instid1(VALU_DEP_1)
	v_and_b32_e32 v0, 0xffff, v0
	v_lshlrev_b32_e32 v0, 3, v0
	s_delay_alu instid0(VALU_DEP_1)
	v_add3_u32 v0, 0, v1, v0
	ds_store_2addr_b64 v0, v[12:13], v[14:15] offset1:3
	ds_store_b64 v0, v[10:11] offset:48
.LBB0_21:
	s_wait_alu 0xfffe
	s_or_b32 exec_lo, exec_lo, s1
	v_add_nc_u32_e32 v0, 0xc00, v22
	v_add_nc_u32_e32 v1, 0x1a00, v22
	;; [unrolled: 1-line block ×3, first 2 shown]
	global_wb scope:SCOPE_SE
	s_wait_dscnt 0x0
	s_barrier_signal -1
	s_barrier_wait -1
	global_inv scope:SCOPE_SE
	ds_load_2addr_b64 v[4:7], v0 offset0:57 offset1:246
	ds_load_2addr_b64 v[0:3], v1 offset0:50 offset1:239
	ds_load_b64 v[18:19], v22
	ds_load_b64 v[16:17], v25
	v_lshl_add_u32 v24, v20, 3, 0
	s_and_saveexec_b32 s1, s0
	s_cbranch_execz .LBB0_23
; %bb.22:
	ds_load_b64 v[14:15], v22 offset:6552
	ds_load_b64 v[12:13], v24 offset:3024
	;; [unrolled: 1-line block ×3, first 2 shown]
.LBB0_23:
	s_wait_alu 0xfffe
	s_or_b32 exec_lo, exec_lo, s1
	v_mul_lo_u16 v30, v26, 57
	v_mul_u32_u24_e32 v29, 0xe38f, v29
	s_delay_alu instid0(VALU_DEP_2) | instskip(NEXT) | instid1(VALU_DEP_2)
	v_lshrrev_b16 v37, 9, v30
	v_lshrrev_b32_e32 v38, 19, v29
	s_delay_alu instid0(VALU_DEP_2) | instskip(NEXT) | instid1(VALU_DEP_2)
	v_mul_lo_u16 v29, v37, 9
	v_mul_lo_u16 v30, v38, 9
	v_mul_u32_u24_e32 v38, 0xd8, v38
	s_delay_alu instid0(VALU_DEP_3) | instskip(NEXT) | instid1(VALU_DEP_3)
	v_sub_nc_u16 v29, v20, v29
	v_sub_nc_u16 v23, v23, v30
	s_delay_alu instid0(VALU_DEP_2) | instskip(NEXT) | instid1(VALU_DEP_2)
	v_and_b32_e32 v39, 0xff, v29
	v_and_b32_e32 v23, 0xffff, v23
	s_delay_alu instid0(VALU_DEP_2) | instskip(NEXT) | instid1(VALU_DEP_2)
	v_lshlrev_b32_e32 v29, 4, v39
	v_lshlrev_b32_e32 v33, 4, v23
	s_clause 0x1
	global_load_b128 v[29:32], v29, s[4:5] offset:48
	global_load_b128 v[33:36], v33, s[4:5] offset:48
	v_and_b32_e32 v37, 0xffff, v37
	v_lshlrev_b32_e32 v23, 3, v23
	global_wb scope:SCOPE_SE
	s_wait_loadcnt_dscnt 0x0
	s_barrier_signal -1
	s_barrier_wait -1
	global_inv scope:SCOPE_SE
	v_add3_u32 v23, 0, v38, v23
	v_mul_f32_e32 v38, v30, v5
	v_dual_mul_f32 v30, v30, v4 :: v_dual_lshlrev_b32 v39, 3, v39
	v_mul_f32_e32 v40, v34, v7
	v_mul_u32_u24_e32 v37, 0xd8, v37
	v_dual_mul_f32 v34, v34, v6 :: v_dual_mul_f32 v41, v36, v3
	v_mul_f32_e32 v36, v36, v2
	v_fma_f32 v4, v29, v4, -v38
	s_delay_alu instid0(VALU_DEP_4) | instskip(NEXT) | instid1(VALU_DEP_4)
	v_add3_u32 v37, 0, v37, v39
	v_dual_mul_f32 v39, v32, v1 :: v_dual_fmac_f32 v34, v33, v7
	v_mul_f32_e32 v32, v32, v0
	v_fmac_f32_e32 v30, v29, v5
	v_dual_fmac_f32 v36, v35, v3 :: v_dual_add_f32 v3, v4, v18
	s_delay_alu instid0(VALU_DEP_4) | instskip(NEXT) | instid1(VALU_DEP_4)
	v_fma_f32 v0, v31, v0, -v39
	v_fmac_f32_e32 v32, v31, v1
	v_fma_f32 v1, v33, v6, -v40
	v_fma_f32 v2, v35, v2, -v41
	v_add_f32_e32 v7, v30, v19
	v_add_f32_e32 v5, v4, v0
	;; [unrolled: 1-line block ×3, first 2 shown]
	s_delay_alu instid0(VALU_DEP_4)
	v_dual_sub_f32 v6, v30, v32 :: v_dual_add_f32 v31, v1, v2
	v_sub_f32_e32 v30, v4, v0
	v_dual_add_f32 v4, v16, v1 :: v_dual_sub_f32 v33, v34, v36
	v_dual_add_f32 v35, v17, v34 :: v_dual_add_f32 v34, v34, v36
	v_sub_f32_e32 v38, v1, v2
	v_dual_add_f32 v0, v3, v0 :: v_dual_fmac_f32 v19, -0.5, v29
	v_fma_f32 v18, -0.5, v5, v18
	v_add_f32_e32 v2, v4, v2
	v_fma_f32 v16, -0.5, v31, v16
	v_fmac_f32_e32 v17, -0.5, v34
	s_delay_alu instid0(VALU_DEP_4)
	v_dual_add_f32 v1, v7, v32 :: v_dual_fmamk_f32 v4, v6, 0x3f5db3d7, v18
	v_fmamk_f32 v5, v30, 0xbf5db3d7, v19
	v_dual_add_f32 v3, v35, v36 :: v_dual_fmac_f32 v18, 0xbf5db3d7, v6
	v_dual_fmac_f32 v19, 0x3f5db3d7, v30 :: v_dual_fmamk_f32 v6, v33, 0x3f5db3d7, v16
	v_dual_fmamk_f32 v7, v38, 0xbf5db3d7, v17 :: v_dual_fmac_f32 v16, 0xbf5db3d7, v33
	v_fmac_f32_e32 v17, 0x3f5db3d7, v38
	ds_store_2addr_b64 v37, v[0:1], v[4:5] offset1:9
	ds_store_b64 v37, v[18:19] offset:144
	ds_store_2addr_b64 v23, v[2:3], v[6:7] offset1:9
	ds_store_b64 v23, v[16:17] offset:144
	s_and_saveexec_b32 s1, s0
	s_cbranch_execz .LBB0_25
; %bb.24:
	v_mul_u32_u24_e32 v0, 0xe38f, v28
	s_delay_alu instid0(VALU_DEP_1) | instskip(NEXT) | instid1(VALU_DEP_1)
	v_lshrrev_b32_e32 v4, 19, v0
	v_mul_lo_u16 v0, v4, 9
	v_mul_lo_u16 v4, v4, 27
	s_delay_alu instid0(VALU_DEP_2) | instskip(NEXT) | instid1(VALU_DEP_1)
	v_sub_nc_u16 v0, v27, v0
	v_and_b32_e32 v5, 0xffff, v0
	s_delay_alu instid0(VALU_DEP_1)
	v_lshlrev_b32_e32 v0, 4, v5
	global_load_b128 v[0:3], v0, s[4:5] offset:48
	s_wait_loadcnt 0x0
	v_dual_mul_f32 v7, v14, v1 :: v_dual_and_b32 v4, 0xffff, v4
	v_mul_f32_e32 v6, v15, v1
	v_mul_f32_e32 v16, v10, v3
	;; [unrolled: 1-line block ×3, first 2 shown]
	v_lshlrev_b32_e32 v3, 3, v5
	s_delay_alu instid0(VALU_DEP_4) | instskip(NEXT) | instid1(VALU_DEP_4)
	v_fma_f32 v5, v14, v0, -v6
	v_fmac_f32_e32 v16, v11, v2
	s_delay_alu instid0(VALU_DEP_4) | instskip(SKIP_2) | instid1(VALU_DEP_2)
	v_fma_f32 v2, v10, v2, -v1
	v_lshlrev_b32_e32 v4, 3, v4
	v_fmac_f32_e32 v7, v15, v0
	v_add3_u32 v6, 0, v3, v4
	s_delay_alu instid0(VALU_DEP_4) | instskip(SKIP_1) | instid1(VALU_DEP_4)
	v_sub_f32_e32 v4, v5, v2
	v_add_f32_e32 v3, v5, v2
	v_dual_add_f32 v5, v12, v5 :: v_dual_add_f32 v0, v7, v16
	v_dual_add_f32 v10, v13, v7 :: v_dual_sub_f32 v7, v7, v16
	s_delay_alu instid0(VALU_DEP_2) | instskip(NEXT) | instid1(VALU_DEP_3)
	v_add_f32_e32 v2, v5, v2
	v_fma_f32 v1, -0.5, v0, v13
	v_fma_f32 v0, -0.5, v3, v12
	s_delay_alu instid0(VALU_DEP_4) | instskip(NEXT) | instid1(VALU_DEP_3)
	v_add_f32_e32 v3, v10, v16
	v_fmamk_f32 v5, v4, 0x3f5db3d7, v1
	s_delay_alu instid0(VALU_DEP_3)
	v_dual_fmac_f32 v1, 0xbf5db3d7, v4 :: v_dual_fmamk_f32 v4, v7, 0xbf5db3d7, v0
	v_fmac_f32_e32 v0, 0x3f5db3d7, v7
	ds_store_2addr_b64 v6, v[2:3], v[0:1] offset1:9
	ds_store_b64 v6, v[4:5] offset:144
.LBB0_25:
	s_wait_alu 0xfffe
	s_or_b32 exec_lo, exec_lo, s1
	v_mul_lo_u16 v0, v26, 19
	global_wb scope:SCOPE_SE
	s_wait_dscnt 0x0
	s_barrier_signal -1
	s_barrier_wait -1
	global_inv scope:SCOPE_SE
	v_lshrrev_b16 v23, 9, v0
	s_delay_alu instid0(VALU_DEP_1) | instskip(SKIP_1) | instid1(VALU_DEP_2)
	v_mul_lo_u16 v0, v23, 27
	v_and_b32_e32 v23, 0xffff, v23
	v_sub_nc_u16 v0, v20, v0
	s_delay_alu instid0(VALU_DEP_2) | instskip(NEXT) | instid1(VALU_DEP_2)
	v_mul_u32_u24_e32 v23, 0x5e8, v23
	v_and_b32_e32 v34, 0xff, v0
	s_delay_alu instid0(VALU_DEP_1) | instskip(NEXT) | instid1(VALU_DEP_1)
	v_mul_u32_u24_e32 v0, 6, v34
	v_lshlrev_b32_e32 v0, 3, v0
	s_clause 0x2
	global_load_b128 v[2:5], v0, s[4:5] offset:192
	global_load_b128 v[10:13], v0, s[4:5] offset:208
	global_load_b128 v[14:17], v0, s[4:5] offset:224
	v_add_nc_u32_e32 v0, 0x1000, v22
	ds_load_b64 v[6:7], v25
	ds_load_b64 v[18:19], v24 offset:3024
	v_add_nc_u32_e32 v1, 0x1c00, v22
	ds_load_2addr_b64 v[26:29], v0 offset0:55 offset1:244
	v_lshlrev_b32_e32 v36, 3, v34
	ds_load_b64 v[34:35], v22
	s_wait_loadcnt_dscnt 0x202
	v_mul_f32_e32 v37, v5, v19
	s_wait_loadcnt_dscnt 0x101
	v_mul_f32_e32 v39, v13, v29
	v_mul_f32_e32 v13, v13, v28
	v_add3_u32 v23, 0, v23, v36
	v_mul_f32_e32 v36, v3, v7
	ds_load_2addr_b64 v[30:33], v1 offset0:49 offset1:238
	v_mul_f32_e32 v3, v3, v6
	v_dual_mul_f32 v5, v5, v18 :: v_dual_mul_f32 v38, v11, v27
	v_fma_f32 v6, v2, v6, -v36
	v_fmac_f32_e32 v13, v12, v29
	s_delay_alu instid0(VALU_DEP_4)
	v_fmac_f32_e32 v3, v2, v7
	v_fma_f32 v2, v4, v18, -v37
	v_fma_f32 v7, v12, v28, -v39
	v_fmac_f32_e32 v5, v4, v19
	v_fma_f32 v4, v10, v26, -v38
	global_wb scope:SCOPE_SE
	s_wait_loadcnt_dscnt 0x0
	s_barrier_signal -1
	s_barrier_wait -1
	global_inv scope:SCOPE_SE
	v_dual_mul_f32 v40, v15, v31 :: v_dual_mul_f32 v41, v17, v33
	s_delay_alu instid0(VALU_DEP_1) | instskip(SKIP_2) | instid1(VALU_DEP_2)
	v_fma_f32 v12, v14, v30, -v40
	v_mul_f32_e32 v11, v11, v26
	v_mul_f32_e32 v15, v15, v30
	v_fmac_f32_e32 v11, v10, v27
	v_fma_f32 v10, v16, v32, -v41
	v_mul_f32_e32 v17, v17, v32
	s_delay_alu instid0(VALU_DEP_4) | instskip(NEXT) | instid1(VALU_DEP_3)
	v_fmac_f32_e32 v15, v14, v31
	v_add_f32_e32 v14, v6, v10
	v_sub_f32_e32 v6, v6, v10
	s_delay_alu instid0(VALU_DEP_4) | instskip(SKIP_3) | instid1(VALU_DEP_4)
	v_dual_add_f32 v10, v2, v12 :: v_dual_fmac_f32 v17, v16, v33
	v_sub_f32_e32 v2, v2, v12
	v_add_f32_e32 v12, v4, v7
	v_sub_f32_e32 v4, v7, v4
	v_sub_f32_e32 v18, v10, v14
	v_add_f32_e32 v16, v3, v17
	v_sub_f32_e32 v3, v3, v17
	v_dual_sub_f32 v7, v13, v11 :: v_dual_sub_f32 v30, v2, v6
	v_dual_add_f32 v26, v4, v2 :: v_dual_add_f32 v17, v5, v15
	v_dual_sub_f32 v28, v4, v2 :: v_dual_sub_f32 v5, v5, v15
	v_dual_sub_f32 v4, v6, v4 :: v_dual_add_f32 v15, v11, v13
	s_delay_alu instid0(VALU_DEP_3) | instskip(SKIP_2) | instid1(VALU_DEP_4)
	v_dual_add_f32 v13, v17, v16 :: v_dual_add_f32 v6, v26, v6
	v_add_f32_e32 v11, v10, v14
	v_sub_f32_e32 v14, v14, v12
	v_dual_sub_f32 v19, v17, v16 :: v_dual_sub_f32 v16, v16, v15
	v_dual_sub_f32 v10, v12, v10 :: v_dual_sub_f32 v17, v15, v17
	s_delay_alu instid0(VALU_DEP_4) | instskip(NEXT) | instid1(VALU_DEP_4)
	v_dual_add_f32 v11, v12, v11 :: v_dual_add_f32 v12, v15, v13
	v_dual_mul_f32 v14, 0x3f4a47b2, v14 :: v_dual_add_f32 v27, v7, v5
	s_delay_alu instid0(VALU_DEP_4) | instskip(NEXT) | instid1(VALU_DEP_4)
	v_mul_f32_e32 v15, 0x3f4a47b2, v16
	v_mul_f32_e32 v16, 0x3d64c772, v10
	;; [unrolled: 1-line block ×3, first 2 shown]
	s_delay_alu instid0(VALU_DEP_4) | instskip(SKIP_1) | instid1(VALU_DEP_4)
	v_fmamk_f32 v10, v10, 0x3d64c772, v14
	v_fma_f32 v14, 0xbf3bfb3b, v18, -v14
	v_fma_f32 v16, 0x3f3bfb3b, v18, -v16
	v_add_f32_e32 v13, v27, v3
	v_mul_f32_e32 v27, 0xbf08b237, v28
	v_sub_f32_e32 v29, v7, v5
	v_sub_f32_e32 v7, v3, v7
	v_fma_f32 v26, 0x3f3bfb3b, v19, -v26
	s_delay_alu instid0(VALU_DEP_4) | instskip(NEXT) | instid1(VALU_DEP_4)
	v_dual_fmamk_f32 v18, v4, 0x3eae86e6, v27 :: v_dual_sub_f32 v5, v5, v3
	v_mul_f32_e32 v28, 0xbf08b237, v29
	v_mul_f32_e32 v29, 0x3f5ff5aa, v30
	v_fma_f32 v27, 0x3f5ff5aa, v30, -v27
	s_delay_alu instid0(VALU_DEP_4) | instskip(SKIP_1) | instid1(VALU_DEP_4)
	v_fmac_f32_e32 v18, 0x3ee1c552, v6
	v_dual_add_f32 v2, v11, v34 :: v_dual_add_f32 v3, v12, v35
	v_fma_f32 v29, 0xbeae86e6, v4, -v29
	v_fmamk_f32 v17, v17, 0x3d64c772, v15
	v_fma_f32 v15, 0xbf3bfb3b, v19, -v15
	s_delay_alu instid0(VALU_DEP_4) | instskip(SKIP_2) | instid1(VALU_DEP_3)
	v_fmamk_f32 v4, v11, 0xbf955555, v2
	v_fmamk_f32 v19, v7, 0x3eae86e6, v28
	v_fma_f32 v28, 0x3f5ff5aa, v5, -v28
	v_dual_add_f32 v14, v14, v4 :: v_dual_mul_f32 v31, 0x3f5ff5aa, v5
	v_fmamk_f32 v5, v12, 0xbf955555, v3
	v_dual_add_f32 v12, v16, v4 :: v_dual_fmac_f32 v27, 0x3ee1c552, v6
	s_delay_alu instid0(VALU_DEP_4) | instskip(NEXT) | instid1(VALU_DEP_4)
	v_fmac_f32_e32 v28, 0x3ee1c552, v13
	v_fma_f32 v30, 0xbeae86e6, v7, -v31
	v_fmac_f32_e32 v29, 0x3ee1c552, v6
	v_add_f32_e32 v31, v10, v4
	s_delay_alu instid0(VALU_DEP_4) | instskip(NEXT) | instid1(VALU_DEP_4)
	v_sub_f32_e32 v10, v12, v28
	v_fmac_f32_e32 v30, 0x3ee1c552, v13
	v_dual_add_f32 v12, v28, v12 :: v_dual_fmac_f32 v19, 0x3ee1c552, v13
	s_delay_alu instid0(VALU_DEP_2) | instskip(SKIP_1) | instid1(VALU_DEP_3)
	v_add_f32_e32 v6, v30, v14
	v_dual_sub_f32 v14, v14, v30 :: v_dual_add_f32 v17, v17, v5
	v_sub_f32_e32 v16, v31, v19
	v_add_f32_e32 v15, v15, v5
	v_dual_add_f32 v13, v26, v5 :: v_dual_add_f32 v4, v19, v31
	s_delay_alu instid0(VALU_DEP_4) | instskip(SKIP_1) | instid1(VALU_DEP_4)
	v_sub_f32_e32 v5, v17, v18
	v_add_f32_e32 v17, v18, v17
	v_sub_f32_e32 v7, v15, v29
	s_delay_alu instid0(VALU_DEP_4)
	v_add_f32_e32 v11, v27, v13
	v_sub_f32_e32 v13, v13, v27
	v_add_f32_e32 v15, v29, v15
	ds_store_2addr_b64 v23, v[2:3], v[4:5] offset1:27
	ds_store_2addr_b64 v23, v[6:7], v[10:11] offset0:54 offset1:81
	ds_store_2addr_b64 v23, v[12:13], v[14:15] offset0:108 offset1:135
	ds_store_b64 v23, v[16:17] offset:1296
	global_wb scope:SCOPE_SE
	s_wait_dscnt 0x0
	s_barrier_signal -1
	s_barrier_wait -1
	global_inv scope:SCOPE_SE
	s_and_saveexec_b32 s0, vcc_lo
	s_cbranch_execz .LBB0_27
; %bb.26:
	v_mul_u32_u24_e32 v2, 6, v20
	v_add_nc_u32_e32 v45, 0xbd, v21
	v_add_nc_u32_e32 v46, 0x17a, v21
	;; [unrolled: 1-line block ×5, first 2 shown]
	v_mad_co_u64_u32 v[33:34], null, s10, v45, 0
	v_lshlrev_b32_e32 v6, 3, v2
	v_mad_co_u64_u32 v[35:36], null, s10, v46, 0
	s_clause 0x2
	global_load_b128 v[2:5], v6, s[4:5] offset:1488
	global_load_b128 v[10:13], v6, s[4:5] offset:1520
	global_load_b128 v[14:17], v6, s[4:5] offset:1504
	ds_load_b64 v[6:7], v25
	ds_load_2addr_b64 v[25:28], v1 offset0:49 offset1:238
	ds_load_2addr_b64 v[29:32], v0 offset0:55 offset1:244
	ds_load_b64 v[0:1], v24 offset:3024
	ds_load_b64 v[18:19], v22
	v_mad_co_u64_u32 v[22:23], null, s10, v21, 0
	v_add_nc_u32_e32 v50, 0x46e, v21
	v_mad_co_u64_u32 v[37:38], null, s10, v47, 0
	s_delay_alu instid0(VALU_DEP_2) | instskip(NEXT) | instid1(VALU_DEP_4)
	v_mad_co_u64_u32 v[43:44], null, s10, v50, 0
	v_dual_mov_b32 v20, v23 :: v_dual_mov_b32 v23, v36
	s_delay_alu instid0(VALU_DEP_3) | instskip(NEXT) | instid1(VALU_DEP_2)
	v_mov_b32_e32 v24, v38
	v_mad_co_u64_u32 v[20:21], null, s11, v21, v[20:21]
	s_delay_alu instid0(VALU_DEP_4) | instskip(NEXT) | instid1(VALU_DEP_1)
	v_dual_mov_b32 v21, v34 :: v_dual_mov_b32 v38, v44
	v_mad_co_u64_u32 v[44:45], null, s11, v45, v[21:22]
	s_delay_alu instid0(VALU_DEP_4) | instskip(NEXT) | instid1(VALU_DEP_4)
	v_mad_co_u64_u32 v[45:46], null, s11, v46, v[23:24]
	v_mov_b32_e32 v23, v20
	v_mad_co_u64_u32 v[39:40], null, s10, v48, 0
	s_wait_dscnt 0x3
	v_mad_co_u64_u32 v[46:47], null, s11, v47, v[24:25]
	v_add_co_u32 v24, vcc_lo, s8, v8
	s_delay_alu instid0(VALU_DEP_3) | instskip(SKIP_1) | instid1(VALU_DEP_2)
	v_mov_b32_e32 v34, v40
	v_mad_co_u64_u32 v[41:42], null, s10, v49, 0
	v_mad_co_u64_u32 v[47:48], null, s11, v48, v[34:35]
	v_mov_b32_e32 v34, v44
	s_delay_alu instid0(VALU_DEP_3) | instskip(NEXT) | instid1(VALU_DEP_2)
	v_mov_b32_e32 v36, v42
	v_lshlrev_b64_e32 v[20:21], 3, v[33:34]
	s_delay_alu instid0(VALU_DEP_4) | instskip(NEXT) | instid1(VALU_DEP_3)
	v_mov_b32_e32 v40, v47
	v_mad_co_u64_u32 v[48:49], null, s11, v49, v[36:37]
	s_wait_loadcnt 0x1
	v_dual_mov_b32 v36, v45 :: v_dual_mul_f32 v45, v11, v26
	v_mad_co_u64_u32 v[49:50], null, s11, v50, v[38:39]
	s_wait_alu 0xfffd
	v_add_co_ci_u32_e32 v50, vcc_lo, s9, v9, vcc_lo
	v_lshlrev_b64_e32 v[8:9], 3, v[22:23]
	v_mov_b32_e32 v38, v46
	v_lshlrev_b64_e32 v[22:23], 3, v[35:36]
	v_lshlrev_b64_e32 v[35:36], 3, v[39:40]
	v_mov_b32_e32 v44, v49
	v_mul_f32_e32 v26, v10, v26
	v_add_co_u32 v8, vcc_lo, v24, v8
	s_wait_alu 0xfffd
	v_add_co_ci_u32_e32 v9, vcc_lo, v50, v9, vcc_lo
	v_lshlrev_b64_e32 v[39:40], 3, v[43:44]
	s_wait_dscnt 0x1
	v_mul_f32_e32 v44, v5, v1
	v_mul_f32_e32 v1, v4, v1
	v_lshlrev_b64_e32 v[33:34], 3, v[37:38]
	v_add_co_u32 v20, vcc_lo, v24, v20
	s_delay_alu instid0(VALU_DEP_3)
	v_dual_fmac_f32 v26, v11, v25 :: v_dual_fmac_f32 v1, v5, v0
	v_mov_b32_e32 v42, v48
	s_wait_alu 0xfffd
	v_add_co_ci_u32_e32 v21, vcc_lo, v50, v21, vcc_lo
	v_add_co_u32 v22, vcc_lo, v24, v22
	s_wait_alu 0xfffd
	v_add_co_ci_u32_e32 v23, vcc_lo, v50, v23, vcc_lo
	v_lshlrev_b64_e32 v[37:38], 3, v[41:42]
	v_add_co_u32 v33, vcc_lo, v24, v33
	s_wait_alu 0xfffd
	v_add_co_ci_u32_e32 v34, vcc_lo, v50, v34, vcc_lo
	v_add_co_u32 v35, vcc_lo, v24, v35
	s_wait_alu 0xfffd
	v_add_co_ci_u32_e32 v36, vcc_lo, v50, v36, vcc_lo
	;; [unrolled: 3-line block ×3, first 2 shown]
	v_add_co_u32 v39, vcc_lo, v24, v39
	v_mul_f32_e32 v41, v13, v28
	v_fma_f32 v4, v4, v0, -v44
	v_fma_f32 v10, v10, v25, -v45
	v_mul_f32_e32 v24, v3, v7
	s_wait_loadcnt 0x0
	v_dual_mul_f32 v43, v15, v30 :: v_dual_mul_f32 v28, v12, v28
	v_mul_f32_e32 v7, v2, v7
	v_fma_f32 v12, v12, v27, -v41
	v_sub_f32_e32 v5, v4, v10
	v_mul_f32_e32 v30, v14, v30
	v_fma_f32 v2, v2, v6, -v24
	v_add_f32_e32 v4, v4, v10
	v_fma_f32 v14, v14, v29, -v43
	v_fmac_f32_e32 v7, v3, v6
	s_wait_alu 0xfffd
	v_add_co_ci_u32_e32 v40, vcc_lo, v50, v40, vcc_lo
	v_sub_f32_e32 v0, v2, v12
	v_add_f32_e32 v2, v2, v12
	v_fmac_f32_e32 v30, v15, v29
	v_mul_f32_e32 v42, v17, v32
	v_mul_f32_e32 v32, v16, v32
	s_delay_alu instid0(VALU_DEP_1) | instskip(NEXT) | instid1(VALU_DEP_1)
	v_fmac_f32_e32 v32, v17, v31
	v_add_f32_e32 v11, v32, v30
	s_delay_alu instid0(VALU_DEP_4) | instskip(NEXT) | instid1(VALU_DEP_1)
	v_fma_f32 v16, v16, v31, -v42
	v_sub_f32_e32 v3, v16, v14
	v_add_f32_e32 v12, v16, v14
	v_fmac_f32_e32 v28, v13, v27
	s_delay_alu instid0(VALU_DEP_3) | instskip(SKIP_4) | instid1(VALU_DEP_2)
	v_dual_sub_f32 v14, v0, v3 :: v_dual_sub_f32 v15, v3, v5
	v_add_f32_e32 v3, v3, v5
	v_sub_f32_e32 v5, v5, v0
	v_add_f32_e32 v13, v1, v26
	v_sub_f32_e32 v1, v1, v26
	v_sub_f32_e32 v17, v11, v13
	s_delay_alu instid0(VALU_DEP_1) | instskip(SKIP_2) | instid1(VALU_DEP_1)
	v_mul_f32_e32 v17, 0x3d64c772, v17
	v_sub_f32_e32 v25, v2, v12
	v_add_f32_e32 v6, v7, v28
	v_dual_sub_f32 v7, v7, v28 :: v_dual_add_f32 v24, v6, v13
	v_sub_f32_e32 v16, v6, v11
	v_dual_sub_f32 v6, v13, v6 :: v_dual_mul_f32 v13, 0xbf08b237, v15
	v_add_f32_e32 v3, v0, v3
	s_delay_alu instid0(VALU_DEP_4) | instskip(SKIP_4) | instid1(VALU_DEP_4)
	v_add_f32_e32 v11, v11, v24
	v_dual_add_f32 v27, v2, v4 :: v_dual_sub_f32 v10, v32, v30
	v_mul_f32_e32 v15, 0x3f4a47b2, v16
	v_sub_f32_e32 v26, v12, v4
	v_sub_f32_e32 v2, v4, v2
	v_dual_add_f32 v12, v12, v27 :: v_dual_sub_f32 v29, v10, v1
	v_sub_f32_e32 v4, v1, v7
	s_wait_dscnt 0x0
	s_delay_alu instid0(VALU_DEP_2) | instskip(SKIP_3) | instid1(VALU_DEP_2)
	v_dual_add_f32 v0, v12, v18 :: v_dual_mul_f32 v27, 0xbf08b237, v29
	v_sub_f32_e32 v28, v7, v10
	v_dual_add_f32 v10, v10, v1 :: v_dual_add_f32 v1, v11, v19
	v_mul_f32_e32 v29, 0x3f5ff5aa, v4
	v_dual_fmamk_f32 v16, v16, 0x3f4a47b2, v17 :: v_dual_add_f32 v7, v7, v10
	v_fmamk_f32 v30, v14, 0x3eae86e6, v13
	v_fma_f32 v13, 0x3f5ff5aa, v5, -v13
	global_store_b64 v[8:9], v[0:1], off
	v_fmac_f32_e32 v30, 0x3ee1c552, v3
	v_mul_f32_e32 v10, 0x3f5ff5aa, v5
	v_fmamk_f32 v5, v11, 0xbf955555, v1
	v_fmac_f32_e32 v13, 0x3ee1c552, v3
	s_delay_alu instid0(VALU_DEP_3) | instskip(SKIP_3) | instid1(VALU_DEP_3)
	v_fma_f32 v10, 0xbeae86e6, v14, -v10
	v_fma_f32 v14, 0xbf3bfb3b, v6, -v15
	;; [unrolled: 1-line block ×3, first 2 shown]
	v_add_f32_e32 v8, v16, v5
	v_dual_fmac_f32 v10, 0x3ee1c552, v3 :: v_dual_add_f32 v9, v14, v5
	v_mul_f32_e32 v26, 0x3d64c772, v26
	s_delay_alu instid0(VALU_DEP_4) | instskip(NEXT) | instid1(VALU_DEP_4)
	v_add_f32_e32 v6, v6, v5
	v_dual_mul_f32 v24, 0x3f4a47b2, v25 :: v_dual_add_f32 v1, v30, v8
	s_delay_alu instid0(VALU_DEP_4) | instskip(NEXT) | instid1(VALU_DEP_4)
	v_add_f32_e32 v3, v10, v9
	v_fmamk_f32 v19, v25, 0x3f4a47b2, v26
	s_delay_alu instid0(VALU_DEP_4)
	v_dual_fmamk_f32 v18, v28, 0x3eae86e6, v27 :: v_dual_sub_f32 v5, v6, v13
	v_fmamk_f32 v11, v12, 0xbf955555, v0
	v_fma_f32 v15, 0xbf3bfb3b, v2, -v24
	v_fma_f32 v24, 0xbeae86e6, v28, -v29
	;; [unrolled: 1-line block ×4, first 2 shown]
	v_fmac_f32_e32 v18, 0x3ee1c552, v7
	v_add_f32_e32 v12, v19, v11
	v_fmac_f32_e32 v24, 0x3ee1c552, v7
	v_add_f32_e32 v14, v15, v11
	v_dual_fmac_f32 v4, 0x3ee1c552, v7 :: v_dual_add_f32 v7, v13, v6
	v_dual_add_f32 v2, v2, v11 :: v_dual_sub_f32 v9, v9, v10
	v_dual_sub_f32 v11, v8, v30 :: v_dual_add_f32 v10, v18, v12
	s_delay_alu instid0(VALU_DEP_4) | instskip(NEXT) | instid1(VALU_DEP_3)
	v_add_f32_e32 v8, v24, v14
	v_sub_f32_e32 v6, v2, v4
	v_add_f32_e32 v4, v4, v2
	v_sub_f32_e32 v2, v14, v24
	v_sub_f32_e32 v0, v12, v18
	s_clause 0x5
	global_store_b64 v[20:21], v[10:11], off
	global_store_b64 v[22:23], v[8:9], off
	;; [unrolled: 1-line block ×6, first 2 shown]
.LBB0_27:
	s_nop 0
	s_sendmsg sendmsg(MSG_DEALLOC_VGPRS)
	s_endpgm
	.section	.rodata,"a",@progbits
	.p2align	6, 0x0
	.amdhsa_kernel fft_rtc_fwd_len1323_factors_3_3_3_7_7_wgs_189_tpt_189_sp_ip_CI_sbrr_dirReg
		.amdhsa_group_segment_fixed_size 0
		.amdhsa_private_segment_fixed_size 0
		.amdhsa_kernarg_size 88
		.amdhsa_user_sgpr_count 2
		.amdhsa_user_sgpr_dispatch_ptr 0
		.amdhsa_user_sgpr_queue_ptr 0
		.amdhsa_user_sgpr_kernarg_segment_ptr 1
		.amdhsa_user_sgpr_dispatch_id 0
		.amdhsa_user_sgpr_private_segment_size 0
		.amdhsa_wavefront_size32 1
		.amdhsa_uses_dynamic_stack 0
		.amdhsa_enable_private_segment 0
		.amdhsa_system_sgpr_workgroup_id_x 1
		.amdhsa_system_sgpr_workgroup_id_y 0
		.amdhsa_system_sgpr_workgroup_id_z 0
		.amdhsa_system_sgpr_workgroup_info 0
		.amdhsa_system_vgpr_workitem_id 0
		.amdhsa_next_free_vgpr 51
		.amdhsa_next_free_sgpr 35
		.amdhsa_reserve_vcc 1
		.amdhsa_float_round_mode_32 0
		.amdhsa_float_round_mode_16_64 0
		.amdhsa_float_denorm_mode_32 3
		.amdhsa_float_denorm_mode_16_64 3
		.amdhsa_fp16_overflow 0
		.amdhsa_workgroup_processor_mode 1
		.amdhsa_memory_ordered 1
		.amdhsa_forward_progress 0
		.amdhsa_round_robin_scheduling 0
		.amdhsa_exception_fp_ieee_invalid_op 0
		.amdhsa_exception_fp_denorm_src 0
		.amdhsa_exception_fp_ieee_div_zero 0
		.amdhsa_exception_fp_ieee_overflow 0
		.amdhsa_exception_fp_ieee_underflow 0
		.amdhsa_exception_fp_ieee_inexact 0
		.amdhsa_exception_int_div_zero 0
	.end_amdhsa_kernel
	.text
.Lfunc_end0:
	.size	fft_rtc_fwd_len1323_factors_3_3_3_7_7_wgs_189_tpt_189_sp_ip_CI_sbrr_dirReg, .Lfunc_end0-fft_rtc_fwd_len1323_factors_3_3_3_7_7_wgs_189_tpt_189_sp_ip_CI_sbrr_dirReg
                                        ; -- End function
	.section	.AMDGPU.csdata,"",@progbits
; Kernel info:
; codeLenInByte = 6436
; NumSgprs: 37
; NumVgprs: 51
; ScratchSize: 0
; MemoryBound: 0
; FloatMode: 240
; IeeeMode: 1
; LDSByteSize: 0 bytes/workgroup (compile time only)
; SGPRBlocks: 4
; VGPRBlocks: 6
; NumSGPRsForWavesPerEU: 37
; NumVGPRsForWavesPerEU: 51
; Occupancy: 15
; WaveLimiterHint : 1
; COMPUTE_PGM_RSRC2:SCRATCH_EN: 0
; COMPUTE_PGM_RSRC2:USER_SGPR: 2
; COMPUTE_PGM_RSRC2:TRAP_HANDLER: 0
; COMPUTE_PGM_RSRC2:TGID_X_EN: 1
; COMPUTE_PGM_RSRC2:TGID_Y_EN: 0
; COMPUTE_PGM_RSRC2:TGID_Z_EN: 0
; COMPUTE_PGM_RSRC2:TIDIG_COMP_CNT: 0
	.text
	.p2alignl 7, 3214868480
	.fill 96, 4, 3214868480
	.type	__hip_cuid_1a8690c846e0bafd,@object ; @__hip_cuid_1a8690c846e0bafd
	.section	.bss,"aw",@nobits
	.globl	__hip_cuid_1a8690c846e0bafd
__hip_cuid_1a8690c846e0bafd:
	.byte	0                               ; 0x0
	.size	__hip_cuid_1a8690c846e0bafd, 1

	.ident	"AMD clang version 19.0.0git (https://github.com/RadeonOpenCompute/llvm-project roc-6.4.0 25133 c7fe45cf4b819c5991fe208aaa96edf142730f1d)"
	.section	".note.GNU-stack","",@progbits
	.addrsig
	.addrsig_sym __hip_cuid_1a8690c846e0bafd
	.amdgpu_metadata
---
amdhsa.kernels:
  - .args:
      - .actual_access:  read_only
        .address_space:  global
        .offset:         0
        .size:           8
        .value_kind:     global_buffer
      - .offset:         8
        .size:           8
        .value_kind:     by_value
      - .actual_access:  read_only
        .address_space:  global
        .offset:         16
        .size:           8
        .value_kind:     global_buffer
      - .actual_access:  read_only
        .address_space:  global
        .offset:         24
        .size:           8
        .value_kind:     global_buffer
      - .offset:         32
        .size:           8
        .value_kind:     by_value
      - .actual_access:  read_only
        .address_space:  global
        .offset:         40
        .size:           8
        .value_kind:     global_buffer
      - .actual_access:  read_only
        .address_space:  global
        .offset:         48
        .size:           8
        .value_kind:     global_buffer
      - .offset:         56
        .size:           4
        .value_kind:     by_value
      - .actual_access:  read_only
        .address_space:  global
        .offset:         64
        .size:           8
        .value_kind:     global_buffer
      - .actual_access:  read_only
        .address_space:  global
        .offset:         72
        .size:           8
        .value_kind:     global_buffer
      - .address_space:  global
        .offset:         80
        .size:           8
        .value_kind:     global_buffer
    .group_segment_fixed_size: 0
    .kernarg_segment_align: 8
    .kernarg_segment_size: 88
    .language:       OpenCL C
    .language_version:
      - 2
      - 0
    .max_flat_workgroup_size: 189
    .name:           fft_rtc_fwd_len1323_factors_3_3_3_7_7_wgs_189_tpt_189_sp_ip_CI_sbrr_dirReg
    .private_segment_fixed_size: 0
    .sgpr_count:     37
    .sgpr_spill_count: 0
    .symbol:         fft_rtc_fwd_len1323_factors_3_3_3_7_7_wgs_189_tpt_189_sp_ip_CI_sbrr_dirReg.kd
    .uniform_work_group_size: 1
    .uses_dynamic_stack: false
    .vgpr_count:     51
    .vgpr_spill_count: 0
    .wavefront_size: 32
    .workgroup_processor_mode: 1
amdhsa.target:   amdgcn-amd-amdhsa--gfx1201
amdhsa.version:
  - 1
  - 2
...

	.end_amdgpu_metadata
